;; amdgpu-corpus repo=ROCm/rocFFT kind=compiled arch=gfx1100 opt=O3
	.text
	.amdgcn_target "amdgcn-amd-amdhsa--gfx1100"
	.amdhsa_code_object_version 6
	.protected	fft_rtc_fwd_len1458_factors_6_3_3_3_3_3_wgs_243_tpt_243_halfLds_sp_op_CI_CI_unitstride_sbrr_C2R_dirReg ; -- Begin function fft_rtc_fwd_len1458_factors_6_3_3_3_3_3_wgs_243_tpt_243_halfLds_sp_op_CI_CI_unitstride_sbrr_C2R_dirReg
	.globl	fft_rtc_fwd_len1458_factors_6_3_3_3_3_3_wgs_243_tpt_243_halfLds_sp_op_CI_CI_unitstride_sbrr_C2R_dirReg
	.p2align	8
	.type	fft_rtc_fwd_len1458_factors_6_3_3_3_3_3_wgs_243_tpt_243_halfLds_sp_op_CI_CI_unitstride_sbrr_C2R_dirReg,@function
fft_rtc_fwd_len1458_factors_6_3_3_3_3_3_wgs_243_tpt_243_halfLds_sp_op_CI_CI_unitstride_sbrr_C2R_dirReg: ; @fft_rtc_fwd_len1458_factors_6_3_3_3_3_3_wgs_243_tpt_243_halfLds_sp_op_CI_CI_unitstride_sbrr_C2R_dirReg
; %bb.0:
	s_clause 0x2
	s_load_b128 s[8:11], s[0:1], 0x0
	s_load_b128 s[4:7], s[0:1], 0x58
	;; [unrolled: 1-line block ×3, first 2 shown]
	v_mul_u32_u24_e32 v1, 0x10e, v0
	v_mov_b32_e32 v8, 0
	v_mov_b32_e32 v6, 0
	;; [unrolled: 1-line block ×3, first 2 shown]
	s_delay_alu instid0(VALU_DEP_4) | instskip(NEXT) | instid1(VALU_DEP_1)
	v_lshrrev_b32_e32 v1, 16, v1
	v_dual_mov_b32 v11, v8 :: v_dual_add_nc_u32 v10, s15, v1
	s_waitcnt lgkmcnt(0)
	v_cmp_lt_u64_e64 s2, s[10:11], 2
	s_delay_alu instid0(VALU_DEP_1)
	s_and_b32 vcc_lo, exec_lo, s2
	s_cbranch_vccnz .LBB0_8
; %bb.1:
	s_load_b64 s[2:3], s[0:1], 0x10
	v_mov_b32_e32 v6, 0
	v_mov_b32_e32 v7, 0
	s_add_u32 s12, s18, 8
	s_addc_u32 s13, s19, 0
	s_add_u32 s14, s16, 8
	s_delay_alu instid0(VALU_DEP_1)
	v_dual_mov_b32 v1, v6 :: v_dual_mov_b32 v2, v7
	s_addc_u32 s15, s17, 0
	s_mov_b64 s[22:23], 1
	s_waitcnt lgkmcnt(0)
	s_add_u32 s20, s2, 8
	s_addc_u32 s21, s3, 0
.LBB0_2:                                ; =>This Inner Loop Header: Depth=1
	s_load_b64 s[24:25], s[20:21], 0x0
                                        ; implicit-def: $vgpr3_vgpr4
	s_mov_b32 s2, exec_lo
	s_waitcnt lgkmcnt(0)
	v_or_b32_e32 v9, s25, v11
	s_delay_alu instid0(VALU_DEP_1)
	v_cmpx_ne_u64_e32 0, v[8:9]
	s_xor_b32 s3, exec_lo, s2
	s_cbranch_execz .LBB0_4
; %bb.3:                                ;   in Loop: Header=BB0_2 Depth=1
	v_cvt_f32_u32_e32 v3, s24
	v_cvt_f32_u32_e32 v4, s25
	s_sub_u32 s2, 0, s24
	s_subb_u32 s26, 0, s25
	s_delay_alu instid0(VALU_DEP_1) | instskip(NEXT) | instid1(VALU_DEP_1)
	v_fmac_f32_e32 v3, 0x4f800000, v4
	v_rcp_f32_e32 v3, v3
	s_waitcnt_depctr 0xfff
	v_mul_f32_e32 v3, 0x5f7ffffc, v3
	s_delay_alu instid0(VALU_DEP_1) | instskip(NEXT) | instid1(VALU_DEP_1)
	v_mul_f32_e32 v4, 0x2f800000, v3
	v_trunc_f32_e32 v4, v4
	s_delay_alu instid0(VALU_DEP_1) | instskip(SKIP_1) | instid1(VALU_DEP_2)
	v_fmac_f32_e32 v3, 0xcf800000, v4
	v_cvt_u32_f32_e32 v4, v4
	v_cvt_u32_f32_e32 v3, v3
	s_delay_alu instid0(VALU_DEP_2) | instskip(NEXT) | instid1(VALU_DEP_2)
	v_mul_lo_u32 v5, s2, v4
	v_mul_hi_u32 v9, s2, v3
	v_mul_lo_u32 v12, s26, v3
	s_delay_alu instid0(VALU_DEP_2) | instskip(SKIP_1) | instid1(VALU_DEP_2)
	v_add_nc_u32_e32 v5, v9, v5
	v_mul_lo_u32 v9, s2, v3
	v_add_nc_u32_e32 v5, v5, v12
	s_delay_alu instid0(VALU_DEP_2) | instskip(NEXT) | instid1(VALU_DEP_2)
	v_mul_hi_u32 v12, v3, v9
	v_mul_lo_u32 v13, v3, v5
	v_mul_hi_u32 v14, v3, v5
	v_mul_hi_u32 v15, v4, v9
	v_mul_lo_u32 v9, v4, v9
	v_mul_hi_u32 v16, v4, v5
	v_mul_lo_u32 v5, v4, v5
	v_add_co_u32 v12, vcc_lo, v12, v13
	v_add_co_ci_u32_e32 v13, vcc_lo, 0, v14, vcc_lo
	s_delay_alu instid0(VALU_DEP_2) | instskip(NEXT) | instid1(VALU_DEP_2)
	v_add_co_u32 v9, vcc_lo, v12, v9
	v_add_co_ci_u32_e32 v9, vcc_lo, v13, v15, vcc_lo
	v_add_co_ci_u32_e32 v12, vcc_lo, 0, v16, vcc_lo
	s_delay_alu instid0(VALU_DEP_2) | instskip(NEXT) | instid1(VALU_DEP_2)
	v_add_co_u32 v5, vcc_lo, v9, v5
	v_add_co_ci_u32_e32 v9, vcc_lo, 0, v12, vcc_lo
	s_delay_alu instid0(VALU_DEP_2) | instskip(NEXT) | instid1(VALU_DEP_2)
	v_add_co_u32 v3, vcc_lo, v3, v5
	v_add_co_ci_u32_e32 v4, vcc_lo, v4, v9, vcc_lo
	s_delay_alu instid0(VALU_DEP_2) | instskip(SKIP_1) | instid1(VALU_DEP_3)
	v_mul_hi_u32 v5, s2, v3
	v_mul_lo_u32 v12, s26, v3
	v_mul_lo_u32 v9, s2, v4
	s_delay_alu instid0(VALU_DEP_1) | instskip(SKIP_1) | instid1(VALU_DEP_2)
	v_add_nc_u32_e32 v5, v5, v9
	v_mul_lo_u32 v9, s2, v3
	v_add_nc_u32_e32 v5, v5, v12
	s_delay_alu instid0(VALU_DEP_2) | instskip(NEXT) | instid1(VALU_DEP_2)
	v_mul_hi_u32 v12, v3, v9
	v_mul_lo_u32 v13, v3, v5
	v_mul_hi_u32 v14, v3, v5
	v_mul_hi_u32 v15, v4, v9
	v_mul_lo_u32 v9, v4, v9
	v_mul_hi_u32 v16, v4, v5
	v_mul_lo_u32 v5, v4, v5
	v_add_co_u32 v12, vcc_lo, v12, v13
	v_add_co_ci_u32_e32 v13, vcc_lo, 0, v14, vcc_lo
	s_delay_alu instid0(VALU_DEP_2) | instskip(NEXT) | instid1(VALU_DEP_2)
	v_add_co_u32 v9, vcc_lo, v12, v9
	v_add_co_ci_u32_e32 v9, vcc_lo, v13, v15, vcc_lo
	v_add_co_ci_u32_e32 v12, vcc_lo, 0, v16, vcc_lo
	s_delay_alu instid0(VALU_DEP_2) | instskip(NEXT) | instid1(VALU_DEP_2)
	v_add_co_u32 v5, vcc_lo, v9, v5
	v_add_co_ci_u32_e32 v9, vcc_lo, 0, v12, vcc_lo
	s_delay_alu instid0(VALU_DEP_2) | instskip(NEXT) | instid1(VALU_DEP_2)
	v_add_co_u32 v5, vcc_lo, v3, v5
	v_add_co_ci_u32_e32 v9, vcc_lo, v4, v9, vcc_lo
	s_delay_alu instid0(VALU_DEP_2) | instskip(SKIP_1) | instid1(VALU_DEP_3)
	v_mul_hi_u32 v16, v10, v5
	v_mad_u64_u32 v[12:13], null, v11, v5, 0
	v_mad_u64_u32 v[3:4], null, v10, v9, 0
	;; [unrolled: 1-line block ×3, first 2 shown]
	s_delay_alu instid0(VALU_DEP_2) | instskip(NEXT) | instid1(VALU_DEP_3)
	v_add_co_u32 v3, vcc_lo, v16, v3
	v_add_co_ci_u32_e32 v4, vcc_lo, 0, v4, vcc_lo
	s_delay_alu instid0(VALU_DEP_2) | instskip(NEXT) | instid1(VALU_DEP_2)
	v_add_co_u32 v3, vcc_lo, v3, v12
	v_add_co_ci_u32_e32 v3, vcc_lo, v4, v13, vcc_lo
	v_add_co_ci_u32_e32 v4, vcc_lo, 0, v15, vcc_lo
	s_delay_alu instid0(VALU_DEP_2) | instskip(NEXT) | instid1(VALU_DEP_2)
	v_add_co_u32 v5, vcc_lo, v3, v14
	v_add_co_ci_u32_e32 v9, vcc_lo, 0, v4, vcc_lo
	s_delay_alu instid0(VALU_DEP_2) | instskip(SKIP_1) | instid1(VALU_DEP_3)
	v_mul_lo_u32 v12, s25, v5
	v_mad_u64_u32 v[3:4], null, s24, v5, 0
	v_mul_lo_u32 v13, s24, v9
	s_delay_alu instid0(VALU_DEP_2) | instskip(NEXT) | instid1(VALU_DEP_2)
	v_sub_co_u32 v3, vcc_lo, v10, v3
	v_add3_u32 v4, v4, v13, v12
	s_delay_alu instid0(VALU_DEP_1) | instskip(NEXT) | instid1(VALU_DEP_1)
	v_sub_nc_u32_e32 v12, v11, v4
	v_subrev_co_ci_u32_e64 v12, s2, s25, v12, vcc_lo
	v_add_co_u32 v13, s2, v5, 2
	s_delay_alu instid0(VALU_DEP_1) | instskip(SKIP_3) | instid1(VALU_DEP_3)
	v_add_co_ci_u32_e64 v14, s2, 0, v9, s2
	v_sub_co_u32 v15, s2, v3, s24
	v_sub_co_ci_u32_e32 v4, vcc_lo, v11, v4, vcc_lo
	v_subrev_co_ci_u32_e64 v12, s2, 0, v12, s2
	v_cmp_le_u32_e32 vcc_lo, s24, v15
	s_delay_alu instid0(VALU_DEP_3) | instskip(SKIP_1) | instid1(VALU_DEP_4)
	v_cmp_eq_u32_e64 s2, s25, v4
	v_cndmask_b32_e64 v15, 0, -1, vcc_lo
	v_cmp_le_u32_e32 vcc_lo, s25, v12
	v_cndmask_b32_e64 v16, 0, -1, vcc_lo
	v_cmp_le_u32_e32 vcc_lo, s24, v3
	;; [unrolled: 2-line block ×3, first 2 shown]
	v_cndmask_b32_e64 v17, 0, -1, vcc_lo
	v_cmp_eq_u32_e32 vcc_lo, s25, v12
	s_delay_alu instid0(VALU_DEP_2) | instskip(SKIP_3) | instid1(VALU_DEP_3)
	v_cndmask_b32_e64 v3, v17, v3, s2
	v_cndmask_b32_e32 v12, v16, v15, vcc_lo
	v_add_co_u32 v15, vcc_lo, v5, 1
	v_add_co_ci_u32_e32 v16, vcc_lo, 0, v9, vcc_lo
	v_cmp_ne_u32_e32 vcc_lo, 0, v12
	s_delay_alu instid0(VALU_DEP_3) | instskip(NEXT) | instid1(VALU_DEP_3)
	v_cndmask_b32_e32 v12, v15, v13, vcc_lo
	v_cndmask_b32_e32 v4, v16, v14, vcc_lo
	v_cmp_ne_u32_e32 vcc_lo, 0, v3
	s_delay_alu instid0(VALU_DEP_2) | instskip(NEXT) | instid1(VALU_DEP_4)
	v_cndmask_b32_e32 v4, v9, v4, vcc_lo
	v_cndmask_b32_e32 v3, v5, v12, vcc_lo
.LBB0_4:                                ;   in Loop: Header=BB0_2 Depth=1
	s_and_not1_saveexec_b32 s2, s3
	s_cbranch_execz .LBB0_6
; %bb.5:                                ;   in Loop: Header=BB0_2 Depth=1
	v_cvt_f32_u32_e32 v3, s24
	s_sub_i32 s3, 0, s24
	s_delay_alu instid0(VALU_DEP_1) | instskip(SKIP_2) | instid1(VALU_DEP_1)
	v_rcp_iflag_f32_e32 v3, v3
	s_waitcnt_depctr 0xfff
	v_mul_f32_e32 v3, 0x4f7ffffe, v3
	v_cvt_u32_f32_e32 v3, v3
	s_delay_alu instid0(VALU_DEP_1) | instskip(NEXT) | instid1(VALU_DEP_1)
	v_mul_lo_u32 v4, s3, v3
	v_mul_hi_u32 v4, v3, v4
	s_delay_alu instid0(VALU_DEP_1) | instskip(NEXT) | instid1(VALU_DEP_1)
	v_add_nc_u32_e32 v3, v3, v4
	v_mul_hi_u32 v3, v10, v3
	s_delay_alu instid0(VALU_DEP_1) | instskip(SKIP_1) | instid1(VALU_DEP_2)
	v_mul_lo_u32 v4, v3, s24
	v_add_nc_u32_e32 v5, 1, v3
	v_sub_nc_u32_e32 v4, v10, v4
	s_delay_alu instid0(VALU_DEP_1) | instskip(SKIP_1) | instid1(VALU_DEP_2)
	v_subrev_nc_u32_e32 v9, s24, v4
	v_cmp_le_u32_e32 vcc_lo, s24, v4
	v_cndmask_b32_e32 v4, v4, v9, vcc_lo
	v_cndmask_b32_e32 v3, v3, v5, vcc_lo
	s_delay_alu instid0(VALU_DEP_2) | instskip(NEXT) | instid1(VALU_DEP_2)
	v_cmp_le_u32_e32 vcc_lo, s24, v4
	v_dual_mov_b32 v4, v8 :: v_dual_add_nc_u32 v5, 1, v3
	s_delay_alu instid0(VALU_DEP_1)
	v_cndmask_b32_e32 v3, v3, v5, vcc_lo
.LBB0_6:                                ;   in Loop: Header=BB0_2 Depth=1
	s_or_b32 exec_lo, exec_lo, s2
	s_delay_alu instid0(VALU_DEP_2) | instskip(NEXT) | instid1(VALU_DEP_2)
	v_mul_lo_u32 v5, v4, s24
	v_mul_lo_u32 v9, v3, s25
	s_load_b64 s[2:3], s[14:15], 0x0
	v_mad_u64_u32 v[12:13], null, v3, s24, 0
	s_load_b64 s[24:25], s[12:13], 0x0
	s_add_u32 s22, s22, 1
	s_addc_u32 s23, s23, 0
	s_add_u32 s12, s12, 8
	s_addc_u32 s13, s13, 0
	s_add_u32 s14, s14, 8
	s_delay_alu instid0(VALU_DEP_1) | instskip(SKIP_3) | instid1(VALU_DEP_2)
	v_add3_u32 v5, v13, v9, v5
	v_sub_co_u32 v13, vcc_lo, v10, v12
	s_addc_u32 s15, s15, 0
	s_add_u32 s20, s20, 8
	v_sub_co_ci_u32_e32 v5, vcc_lo, v11, v5, vcc_lo
	s_addc_u32 s21, s21, 0
	s_waitcnt lgkmcnt(0)
	s_delay_alu instid0(VALU_DEP_1)
	v_mul_lo_u32 v14, s2, v5
	v_mul_lo_u32 v15, s3, v13
	v_mad_u64_u32 v[9:10], null, s2, v13, v[6:7]
	v_mul_lo_u32 v5, s24, v5
	v_mul_lo_u32 v16, s25, v13
	v_mad_u64_u32 v[11:12], null, s24, v13, v[1:2]
	v_cmp_ge_u64_e64 s2, s[22:23], s[10:11]
	v_add3_u32 v7, v15, v10, v14
	s_delay_alu instid0(VALU_DEP_3) | instskip(NEXT) | instid1(VALU_DEP_4)
	v_dual_mov_b32 v6, v9 :: v_dual_mov_b32 v1, v11
	v_add3_u32 v2, v16, v12, v5
	s_delay_alu instid0(VALU_DEP_4)
	s_and_b32 vcc_lo, exec_lo, s2
	s_cbranch_vccnz .LBB0_9
; %bb.7:                                ;   in Loop: Header=BB0_2 Depth=1
	v_dual_mov_b32 v11, v4 :: v_dual_mov_b32 v10, v3
	s_branch .LBB0_2
.LBB0_8:
	v_dual_mov_b32 v1, v6 :: v_dual_mov_b32 v2, v7
	v_dual_mov_b32 v3, v10 :: v_dual_mov_b32 v4, v11
.LBB0_9:
	s_load_b64 s[0:1], s[0:1], 0x28
	v_mul_hi_u32 v8, 0x10db20b, v0
	s_lshl_b64 s[10:11], s[10:11], 3
                                        ; implicit-def: $vgpr5
	s_delay_alu instid0(SALU_CYCLE_1) | instskip(SKIP_4) | instid1(VALU_DEP_1)
	s_add_u32 s2, s18, s10
	s_addc_u32 s3, s19, s11
	s_waitcnt lgkmcnt(0)
	v_cmp_gt_u64_e32 vcc_lo, s[0:1], v[3:4]
	v_cmp_le_u64_e64 s0, s[0:1], v[3:4]
	s_and_saveexec_b32 s1, s0
	s_delay_alu instid0(SALU_CYCLE_1)
	s_xor_b32 s0, exec_lo, s1
; %bb.10:
	v_mul_u32_u24_e32 v5, 0xf3, v8
                                        ; implicit-def: $vgpr8
                                        ; implicit-def: $vgpr6_vgpr7
	s_delay_alu instid0(VALU_DEP_1)
	v_sub_nc_u32_e32 v5, v0, v5
                                        ; implicit-def: $vgpr0
; %bb.11:
	s_or_saveexec_b32 s1, s0
	s_load_b64 s[2:3], s[2:3], 0x0
	s_xor_b32 exec_lo, exec_lo, s1
	s_cbranch_execz .LBB0_15
; %bb.12:
	s_add_u32 s10, s16, s10
	s_addc_u32 s11, s17, s11
	v_lshlrev_b64 v[6:7], 3, v[6:7]
	s_load_b64 s[10:11], s[10:11], 0x0
	s_waitcnt lgkmcnt(0)
	v_mul_lo_u32 v5, s11, v3
	v_mul_lo_u32 v11, s10, v4
	v_mad_u64_u32 v[9:10], null, s10, v3, 0
	s_delay_alu instid0(VALU_DEP_1) | instskip(SKIP_1) | instid1(VALU_DEP_2)
	v_add3_u32 v10, v10, v11, v5
	v_mul_u32_u24_e32 v5, 0xf3, v8
	v_lshlrev_b64 v[8:9], 3, v[9:10]
	s_delay_alu instid0(VALU_DEP_2) | instskip(NEXT) | instid1(VALU_DEP_1)
	v_sub_nc_u32_e32 v5, v0, v5
	v_lshlrev_b32_e32 v19, 3, v5
	s_delay_alu instid0(VALU_DEP_3) | instskip(NEXT) | instid1(VALU_DEP_1)
	v_add_co_u32 v0, s0, s4, v8
	v_add_co_ci_u32_e64 v8, s0, s5, v9, s0
	s_mov_b32 s4, exec_lo
	s_delay_alu instid0(VALU_DEP_2) | instskip(NEXT) | instid1(VALU_DEP_1)
	v_add_co_u32 v0, s0, v0, v6
	v_add_co_ci_u32_e64 v6, s0, v8, v7, s0
	s_delay_alu instid0(VALU_DEP_2) | instskip(NEXT) | instid1(VALU_DEP_1)
	v_add_co_u32 v7, s0, v0, v19
	v_add_co_ci_u32_e64 v8, s0, 0, v6, s0
	v_add_nc_u32_e32 v19, 0, v19
	s_delay_alu instid0(VALU_DEP_3) | instskip(NEXT) | instid1(VALU_DEP_1)
	v_add_co_u32 v9, s0, 0x1000, v7
	v_add_co_ci_u32_e64 v10, s0, 0, v8, s0
	v_add_co_u32 v11, s0, 0x2000, v7
	s_delay_alu instid0(VALU_DEP_1)
	v_add_co_ci_u32_e64 v12, s0, 0, v8, s0
	s_clause 0x5
	global_load_b64 v[13:14], v[7:8], off
	global_load_b64 v[15:16], v[7:8], off offset:1944
	global_load_b64 v[7:8], v[7:8], off offset:3888
	;; [unrolled: 1-line block ×5, first 2 shown]
	v_add_nc_u32_e32 v20, 0xf00, v19
	v_add_nc_u32_e32 v21, 0x1e00, v19
	s_waitcnt vmcnt(4)
	ds_store_2addr_b64 v19, v[13:14], v[15:16] offset1:243
	s_waitcnt vmcnt(2)
	ds_store_2addr_b64 v20, v[7:8], v[17:18] offset0:6 offset1:249
	s_waitcnt vmcnt(0)
	ds_store_2addr_b64 v21, v[9:10], v[11:12] offset0:12 offset1:255
	v_cmpx_eq_u32_e32 0xf2, v5
	s_cbranch_execz .LBB0_14
; %bb.13:
	v_add_co_u32 v5, s0, 0x2000, v0
	s_delay_alu instid0(VALU_DEP_1)
	v_add_co_ci_u32_e64 v6, s0, 0, v6, s0
	v_mov_b32_e32 v0, 0
	global_load_b64 v[6:7], v[5:6], off offset:3472
	v_mov_b32_e32 v5, 0xf2
	s_waitcnt vmcnt(0)
	ds_store_b64 v0, v[6:7] offset:11664
.LBB0_14:
	s_or_b32 exec_lo, exec_lo, s4
.LBB0_15:
	s_delay_alu instid0(SALU_CYCLE_1)
	s_or_b32 exec_lo, exec_lo, s1
	v_lshlrev_b32_e32 v6, 3, v5
	s_waitcnt lgkmcnt(0)
	s_barrier
	buffer_gl0_inv
	s_add_u32 s1, s8, 0x2d60
	v_add_nc_u32_e32 v0, 0, v6
	v_sub_nc_u32_e32 v11, 0, v6
	s_addc_u32 s4, s9, 0
	s_mov_b32 s5, exec_lo
                                        ; implicit-def: $vgpr9_vgpr10
	ds_load_b32 v12, v0
	ds_load_b32 v13, v11 offset:11664
	s_waitcnt lgkmcnt(0)
	v_dual_add_f32 v7, v13, v12 :: v_dual_sub_f32 v8, v12, v13
	v_cmpx_ne_u32_e32 0, v5
	s_xor_b32 s5, exec_lo, s5
	s_cbranch_execz .LBB0_17
; %bb.16:
	v_dual_mov_b32 v6, 0 :: v_dual_sub_f32 v15, v12, v13
	s_delay_alu instid0(VALU_DEP_1) | instskip(NEXT) | instid1(VALU_DEP_1)
	v_lshlrev_b64 v[7:8], 3, v[5:6]
	v_add_co_u32 v7, s0, s1, v7
	s_delay_alu instid0(VALU_DEP_1)
	v_add_co_ci_u32_e64 v8, s0, s4, v8, s0
	global_load_b64 v[9:10], v[7:8], off
	ds_load_b32 v7, v11 offset:11668
	ds_load_b32 v8, v0 offset:4
	v_add_f32_e32 v14, v13, v12
	s_waitcnt lgkmcnt(0)
	v_dual_add_f32 v16, v7, v8 :: v_dual_sub_f32 v7, v8, v7
	s_waitcnt vmcnt(0)
	s_delay_alu instid0(VALU_DEP_2) | instskip(NEXT) | instid1(VALU_DEP_2)
	v_fma_f32 v12, -v15, v10, v14
	v_fma_f32 v13, v16, v10, -v7
	v_fma_f32 v17, v15, v10, v14
	v_fma_f32 v8, v16, v10, v7
	s_delay_alu instid0(VALU_DEP_3) | instskip(NEXT) | instid1(VALU_DEP_3)
	v_dual_fmac_f32 v12, v9, v16 :: v_dual_fmac_f32 v13, v15, v9
	v_fma_f32 v7, -v9, v16, v17
	s_delay_alu instid0(VALU_DEP_3)
	v_fmac_f32_e32 v8, v15, v9
	v_dual_mov_b32 v10, v6 :: v_dual_mov_b32 v9, v5
	ds_store_b64 v11, v[12:13] offset:11664
.LBB0_17:
	s_and_not1_saveexec_b32 s0, s5
	s_cbranch_execz .LBB0_19
; %bb.18:
	v_mov_b32_e32 v6, 0
	ds_load_b64 v[9:10], v6 offset:5832
	s_waitcnt lgkmcnt(0)
	v_dual_mul_f32 v13, -2.0, v10 :: v_dual_add_f32 v12, v9, v9
	v_mov_b32_e32 v9, 0
	v_mov_b32_e32 v10, 0
	ds_store_b64 v6, v[12:13] offset:5832
.LBB0_19:
	s_or_b32 exec_lo, exec_lo, s0
	v_lshlrev_b64 v[9:10], 3, v[9:10]
	v_and_b32_e32 v31, 0xff, v5
	s_delay_alu instid0(VALU_DEP_2) | instskip(NEXT) | instid1(VALU_DEP_1)
	v_add_co_u32 v9, s0, s1, v9
	v_add_co_ci_u32_e64 v10, s0, s4, v10, s0
	s_clause 0x1
	global_load_b64 v[12:13], v[9:10], off offset:1944
	global_load_b64 v[14:15], v[9:10], off offset:3888
	ds_store_b64 v0, v[7:8]
	ds_load_b64 v[6:7], v0 offset:1944
	ds_load_b64 v[8:9], v11 offset:9720
	v_cmp_gt_u32_e64 s0, 0xa2, v5
	v_mul_lo_u16 v19, 0xab, v31
	s_waitcnt lgkmcnt(0)
	v_add_f32_e32 v10, v6, v8
	v_dual_add_f32 v16, v9, v7 :: v_dual_sub_f32 v17, v6, v8
	v_sub_f32_e32 v6, v7, v9
	s_waitcnt vmcnt(1)
	s_delay_alu instid0(VALU_DEP_1) | instskip(NEXT) | instid1(VALU_DEP_3)
	v_fma_f32 v7, v16, v13, v6
	v_fma_f32 v18, v17, v13, v10
	v_fma_f32 v8, -v17, v13, v10
	s_delay_alu instid0(VALU_DEP_3) | instskip(SKIP_1) | instid1(VALU_DEP_4)
	v_dual_fmac_f32 v7, v17, v12 :: v_dual_add_nc_u32 v10, 0xf3, v5
	v_fma_f32 v9, v16, v13, -v6
	v_fma_f32 v6, -v12, v16, v18
	s_delay_alu instid0(VALU_DEP_4) | instskip(NEXT) | instid1(VALU_DEP_3)
	v_fmac_f32_e32 v8, v12, v16
	v_fmac_f32_e32 v9, v17, v12
	ds_store_b64 v0, v[6:7] offset:1944
	ds_store_b64 v11, v[8:9] offset:9720
	ds_load_b64 v[6:7], v0 offset:3888
	ds_load_b64 v[8:9], v11 offset:7776
	s_waitcnt lgkmcnt(0)
	v_add_f32_e32 v12, v6, v8
	v_sub_f32_e32 v8, v6, v8
	v_dual_add_f32 v18, v9, v7 :: v_dual_sub_f32 v9, v7, v9
	v_and_b32_e32 v7, 0xffff, v10
	s_waitcnt vmcnt(0)
	s_delay_alu instid0(VALU_DEP_3) | instskip(SKIP_2) | instid1(VALU_DEP_1)
	v_fma_f32 v20, v8, v15, v12
	v_fma_f32 v16, -v8, v15, v12
	v_fma_f32 v13, v18, v15, v9
	v_fmac_f32_e32 v13, v8, v14
	v_fma_f32 v17, v18, v15, -v9
	v_mul_u32_u24_e32 v15, 0xaaab, v7
	v_fma_f32 v12, -v14, v18, v20
	v_add_nc_u32_e32 v6, 0xf00, v0
	v_dual_fmac_f32 v16, v14, v18 :: v_dual_add_nc_u32 v9, 0x1e00, v0
	v_fmac_f32_e32 v17, v8, v14
	v_lshrrev_b16 v8, 10, v19
	v_lshrrev_b32_e32 v29, 18, v15
	ds_store_b64 v0, v[12:13] offset:3888
	ds_store_b64 v11, v[16:17] offset:7776
	s_waitcnt lgkmcnt(0)
	s_barrier
	buffer_gl0_inv
	s_barrier
	buffer_gl0_inv
	ds_load_2addr_b64 v[11:14], v0 offset1:243
	ds_load_2addr_b64 v[15:18], v6 offset0:6 offset1:249
	ds_load_2addr_b64 v[19:22], v9 offset0:12 offset1:255
	v_mul_lo_u16 v23, v8, 6
	v_mul_lo_u16 v24, v29, 6
	s_waitcnt lgkmcnt(0)
	s_barrier
	buffer_gl0_inv
	v_sub_nc_u16 v23, v5, v23
	v_sub_nc_u16 v24, v10, v24
	s_delay_alu instid0(VALU_DEP_2) | instskip(NEXT) | instid1(VALU_DEP_2)
	v_and_b32_e32 v30, 0xff, v23
	v_and_b32_e32 v32, 0xffff, v24
	v_mad_u32_u24 v23, v5, 40, v0
	v_dual_add_f32 v26, v11, v15 :: v_dual_add_f32 v37, v14, v18
	v_dual_add_f32 v27, v15, v19 :: v_dual_sub_f32 v28, v16, v20
	v_dual_add_f32 v33, v12, v16 :: v_dual_lshlrev_b32 v24, 4, v30
	v_dual_add_f32 v35, v17, v21 :: v_dual_add_f32 v16, v16, v20
	v_sub_f32_e32 v15, v15, v19
	v_add_f32_e32 v19, v26, v19
	v_dual_add_f32 v34, v13, v17 :: v_dual_lshlrev_b32 v25, 4, v32
	v_sub_f32_e32 v17, v17, v21
	v_fma_f32 v26, -0.5, v27, v11
	v_sub_f32_e32 v36, v18, v22
	v_fma_f32 v27, -0.5, v16, v12
	v_add_f32_e32 v18, v18, v22
	v_add_f32_e32 v16, v34, v21
	v_fma_f32 v21, -0.5, v35, v13
	v_dual_add_f32 v20, v33, v20 :: v_dual_fmamk_f32 v33, v28, 0x3f5db3d7, v26
	v_fmac_f32_e32 v26, 0xbf5db3d7, v28
	v_fmamk_f32 v28, v15, 0xbf5db3d7, v27
	v_fmac_f32_e32 v27, 0x3f5db3d7, v15
	v_fmamk_f32 v15, v36, 0x3f5db3d7, v21
	v_dual_fmac_f32 v21, 0xbf5db3d7, v36 :: v_dual_fmac_f32 v14, -0.5, v18
	v_dual_add_f32 v22, v37, v22 :: v_dual_add_f32 v11, v19, v16
	v_sub_f32_e32 v13, v19, v16
	s_delay_alu instid0(VALU_DEP_3) | instskip(SKIP_1) | instid1(VALU_DEP_1)
	v_dual_mul_f32 v35, -0.5, v21 :: v_dual_fmamk_f32 v18, v17, 0xbf5db3d7, v14
	v_fmac_f32_e32 v14, 0x3f5db3d7, v17
	v_mul_f32_e32 v37, -0.5, v14
	s_delay_alu instid0(VALU_DEP_3) | instskip(NEXT) | instid1(VALU_DEP_4)
	v_fmac_f32_e32 v35, 0x3f5db3d7, v14
	v_mul_f32_e32 v34, 0x3f5db3d7, v18
	v_add_f32_e32 v12, v20, v22
	s_delay_alu instid0(VALU_DEP_4) | instskip(NEXT) | instid1(VALU_DEP_4)
	v_dual_sub_f32 v14, v20, v22 :: v_dual_fmac_f32 v37, 0xbf5db3d7, v21
	v_sub_f32_e32 v21, v26, v35
	s_delay_alu instid0(VALU_DEP_4) | instskip(SKIP_1) | instid1(VALU_DEP_2)
	v_fmac_f32_e32 v34, 0.5, v15
	v_mul_f32_e32 v36, 0xbf5db3d7, v15
	v_dual_sub_f32 v22, v27, v37 :: v_dual_sub_f32 v19, v33, v34
	s_delay_alu instid0(VALU_DEP_2) | instskip(SKIP_2) | instid1(VALU_DEP_3)
	v_fmac_f32_e32 v36, 0.5, v18
	v_dual_add_f32 v15, v33, v34 :: v_dual_add_f32 v18, v27, v37
	v_mul_u32_u24_e32 v37, 0x90, v29
	v_dual_add_f32 v16, v28, v36 :: v_dual_add_f32 v17, v26, v35
	v_sub_f32_e32 v20, v28, v36
	ds_store_2addr_b64 v23, v[11:12], v[15:16] offset1:1
	ds_store_2addr_b64 v23, v[17:18], v[13:14] offset0:2 offset1:3
	ds_store_2addr_b64 v23, v[19:20], v[21:22] offset0:4 offset1:5
	s_waitcnt lgkmcnt(0)
	s_barrier
	buffer_gl0_inv
	s_clause 0x1
	global_load_b128 v[11:14], v24, s[8:9]
	global_load_b128 v[15:18], v25, s[8:9]
	v_add_nc_u32_e32 v23, 0x1680, v0
	v_mul_lo_u16 v19, v31, 57
	v_mul_u32_u24_e32 v20, 0xe38f, v7
	v_mul_u32_u24_e32 v7, 0x6523, v7
	ds_load_2addr_b64 v[23:26], v23 offset0:9 offset1:252
	v_lshrrev_b16 v33, 10, v19
	v_add_nc_u32_e32 v19, 0x780, v0
	v_lshrrev_b32_e32 v34, 20, v20
	s_delay_alu instid0(VALU_DEP_3) | instskip(SKIP_4) | instid1(VALU_DEP_3)
	v_mul_lo_u16 v27, v33, 18
	ds_load_2addr_b64 v[19:22], v19 offset0:3 offset1:246
	v_mul_lo_u16 v28, v34, 18
	v_and_b32_e32 v8, 0xffff, v8
	v_sub_nc_u16 v35, v5, v27
	v_sub_nc_u16 v36, v10, v28
	ds_load_b64 v[27:28], v0 offset:9720
	v_and_b32_e32 v35, 0xff, v35
	s_delay_alu instid0(VALU_DEP_1) | instskip(SKIP_3) | instid1(VALU_DEP_1)
	v_lshlrev_b32_e32 v39, 4, v35
	s_waitcnt vmcnt(0) lgkmcnt(2)
	v_mul_f32_e32 v41, v16, v24
	v_mul_f32_e32 v16, v16, v23
	v_fmac_f32_e32 v16, v15, v24
	v_mul_f32_e32 v40, v14, v26
	v_mul_f32_e32 v14, v14, v25
	s_delay_alu instid0(VALU_DEP_1) | instskip(SKIP_1) | instid1(VALU_DEP_1)
	v_fmac_f32_e32 v14, v13, v26
	v_lshlrev_b32_e32 v32, 3, v32
	v_add3_u32 v32, 0, v37, v32
	s_waitcnt lgkmcnt(1)
	v_mul_f32_e32 v37, v12, v22
	v_mul_f32_e32 v12, v12, v21
	v_mul_u32_u24_e32 v8, 0x90, v8
	s_delay_alu instid0(VALU_DEP_3) | instskip(NEXT) | instid1(VALU_DEP_3)
	v_fma_f32 v21, v11, v21, -v37
	v_dual_fmac_f32 v12, v11, v22 :: v_dual_add_f32 v37, v20, v16
	v_fma_f32 v11, v13, v25, -v40
	v_lshlrev_b32_e32 v38, 3, v30
	ds_load_2addr_b32 v[29:30], v0 offset1:1
	v_and_b32_e32 v36, 0xffff, v36
	v_fma_f32 v13, v15, v23, -v41
	s_waitcnt lgkmcnt(1)
	v_dual_sub_f32 v23, v12, v14 :: v_dual_mul_f32 v42, v18, v28
	v_mul_f32_e32 v18, v18, v27
	v_add_f32_e32 v22, v21, v11
	v_add_f32_e32 v26, v19, v13
	s_waitcnt lgkmcnt(0)
	v_fma_f32 v15, v17, v27, -v42
	v_fmac_f32_e32 v18, v17, v28
	s_barrier
	buffer_gl0_inv
	v_add_f32_e32 v27, v13, v15
	v_sub_f32_e32 v40, v13, v15
	v_dual_add_f32 v13, v26, v15 :: v_dual_sub_f32 v28, v16, v18
	v_add_f32_e32 v16, v16, v18
	s_delay_alu instid0(VALU_DEP_4)
	v_fma_f32 v19, -0.5, v27, v19
	v_add_f32_e32 v17, v21, v29
	v_sub_f32_e32 v21, v21, v11
	v_add3_u32 v8, 0, v8, v38
	v_lshlrev_b32_e32 v38, 4, v36
	v_and_b32_e32 v27, 0xffff, v33
	v_dual_add_f32 v25, v12, v14 :: v_dual_add_f32 v24, v30, v12
	v_fma_f32 v29, -0.5, v22, v29
	v_dual_fmac_f32 v20, -0.5, v16 :: v_dual_add_f32 v11, v17, v11
	s_delay_alu instid0(VALU_DEP_3) | instskip(NEXT) | instid1(VALU_DEP_3)
	v_fmac_f32_e32 v30, -0.5, v25
	v_dual_add_f32 v12, v24, v14 :: v_dual_fmamk_f32 v15, v23, 0x3f5db3d7, v29
	v_dual_fmac_f32 v29, 0xbf5db3d7, v23 :: v_dual_add_f32 v14, v37, v18
	s_delay_alu instid0(VALU_DEP_3)
	v_fmamk_f32 v16, v21, 0xbf5db3d7, v30
	v_dual_fmac_f32 v30, 0x3f5db3d7, v21 :: v_dual_fmamk_f32 v17, v28, 0x3f5db3d7, v19
	v_dual_fmamk_f32 v18, v40, 0xbf5db3d7, v20 :: v_dual_fmac_f32 v19, 0xbf5db3d7, v28
	v_fmac_f32_e32 v20, 0x3f5db3d7, v40
	ds_store_2addr_b64 v8, v[11:12], v[15:16] offset1:6
	ds_store_b64 v8, v[29:30] offset:96
	ds_store_2addr_b64 v32, v[13:14], v[17:18] offset1:6
	ds_store_b64 v32, v[19:20] offset:96
	s_waitcnt lgkmcnt(0)
	s_barrier
	buffer_gl0_inv
	s_clause 0x1
	global_load_b128 v[11:14], v39, s[8:9] offset:96
	global_load_b128 v[15:18], v38, s[8:9] offset:96
	v_mul_lo_u16 v19, v31, 19
	ds_load_2addr_b64 v[23:26], v9 offset0:12 offset1:255
	v_lshrrev_b16 v8, 1, v10
	v_mul_u32_u24_e32 v27, 0x1b0, v27
	v_mul_u32_u24_e32 v29, 0x1b0, v34
	v_lshrrev_b16 v31, 10, v19
	ds_load_2addr_b64 v[19:22], v6 offset0:6 offset1:249
	v_and_b32_e32 v8, 0xffff, v8
	v_lshlrev_b32_e32 v30, 3, v36
	s_delay_alu instid0(VALU_DEP_2) | instskip(NEXT) | instid1(VALU_DEP_2)
	v_mul_u32_u24_e32 v8, 0x97b5, v8
	v_add3_u32 v36, 0, v29, v30
	s_delay_alu instid0(VALU_DEP_2) | instskip(SKIP_1) | instid1(VALU_DEP_2)
	v_lshrrev_b32_e32 v32, 20, v8
	v_mul_lo_u16 v8, v31, 54
	v_mul_lo_u16 v28, v32, 54
	s_delay_alu instid0(VALU_DEP_2) | instskip(NEXT) | instid1(VALU_DEP_2)
	v_sub_nc_u16 v8, v5, v8
	v_sub_nc_u16 v28, v10, v28
	s_delay_alu instid0(VALU_DEP_2) | instskip(NEXT) | instid1(VALU_DEP_2)
	v_and_b32_e32 v33, 0xff, v8
	v_and_b32_e32 v34, 0xffff, v28
	s_delay_alu instid0(VALU_DEP_1)
	v_lshlrev_b32_e32 v37, 4, v34
	v_lshlrev_b32_e32 v34, 3, v34
	s_waitcnt vmcnt(1) lgkmcnt(0)
	v_mul_f32_e32 v38, v12, v20
	s_waitcnt vmcnt(0)
	v_mul_f32_e32 v40, v16, v22
	v_dual_mul_f32 v16, v16, v21 :: v_dual_mul_f32 v41, v18, v26
	v_mul_f32_e32 v18, v18, v25
	v_dual_mul_f32 v12, v12, v19 :: v_dual_mul_f32 v39, v14, v24
	s_delay_alu instid0(VALU_DEP_3) | instskip(SKIP_1) | instid1(VALU_DEP_4)
	v_fmac_f32_e32 v16, v15, v22
	v_mul_f32_e32 v14, v14, v23
	v_fmac_f32_e32 v18, v17, v26
	v_fma_f32 v19, v11, v19, -v38
	v_fmac_f32_e32 v12, v11, v20
	v_fma_f32 v11, v13, v23, -v39
	v_fmac_f32_e32 v14, v13, v24
	v_sub_f32_e32 v26, v16, v18
	v_lshlrev_b32_e32 v8, 3, v35
	v_fma_f32 v13, v15, v21, -v40
	v_fma_f32 v15, v17, v25, -v41
	v_dual_add_f32 v20, v19, v11 :: v_dual_add_f32 v23, v12, v14
	s_delay_alu instid0(VALU_DEP_4)
	v_add3_u32 v8, 0, v27, v8
	ds_load_2addr_b64 v[27:30], v0 offset1:243
	v_add_f32_e32 v25, v13, v15
	v_add_f32_e32 v39, v16, v18
	v_dual_sub_f32 v21, v12, v14 :: v_dual_sub_f32 v40, v13, v15
	v_lshlrev_b32_e32 v35, 4, v33
	s_waitcnt lgkmcnt(0)
	s_barrier
	buffer_gl0_inv
	v_dual_add_f32 v22, v12, v28 :: v_dual_add_f32 v17, v19, v27
	v_dual_sub_f32 v19, v19, v11 :: v_dual_add_f32 v24, v29, v13
	v_add_f32_e32 v38, v30, v16
	v_fma_f32 v13, -0.5, v20, v27
	s_delay_alu instid0(VALU_DEP_4)
	v_add_f32_e32 v12, v22, v14
	v_fma_f32 v14, -0.5, v23, v28
	v_fma_f32 v29, -0.5, v25, v29
	v_fmac_f32_e32 v30, -0.5, v39
	v_dual_add_f32 v11, v17, v11 :: v_dual_add_f32 v16, v38, v18
	v_fmamk_f32 v17, v21, 0x3f5db3d7, v13
	v_dual_fmamk_f32 v18, v19, 0xbf5db3d7, v14 :: v_dual_fmac_f32 v13, 0xbf5db3d7, v21
	v_fmac_f32_e32 v14, 0x3f5db3d7, v19
	v_add_f32_e32 v15, v24, v15
	v_fmamk_f32 v19, v26, 0x3f5db3d7, v29
	v_dual_fmamk_f32 v20, v40, 0xbf5db3d7, v30 :: v_dual_fmac_f32 v29, 0xbf5db3d7, v26
	v_fmac_f32_e32 v30, 0x3f5db3d7, v40
	ds_store_2addr_b64 v8, v[11:12], v[17:18] offset1:18
	ds_store_b64 v8, v[13:14] offset:288
	ds_store_2addr_b64 v36, v[15:16], v[19:20] offset1:18
	ds_store_b64 v36, v[29:30] offset:288
	s_waitcnt lgkmcnt(0)
	s_barrier
	buffer_gl0_inv
	s_clause 0x1
	global_load_b128 v[11:14], v35, s[8:9] offset:384
	global_load_b128 v[15:18], v37, s[8:9] offset:384
	v_add_nc_u32_e32 v8, 0xffffff5e, v5
	v_lshrrev_b32_e32 v36, 22, v7
	v_and_b32_e32 v29, 0xffff, v31
	ds_load_2addr_b64 v[19:22], v6 offset0:6 offset1:249
	ds_load_2addr_b64 v[23:26], v9 offset0:12 offset1:255
	v_mul_u32_u24_e32 v37, 0x510, v32
	v_cndmask_b32_e64 v35, v8, v5, s0
	v_mov_b32_e32 v8, 0
	v_mul_lo_u16 v27, 0xa2, v36
	s_delay_alu instid0(VALU_DEP_4) | instskip(NEXT) | instid1(VALU_DEP_4)
	v_add3_u32 v34, 0, v37, v34
	v_lshlrev_b32_e32 v7, 1, v35
	s_delay_alu instid0(VALU_DEP_3) | instskip(NEXT) | instid1(VALU_DEP_2)
	v_sub_nc_u16 v30, v10, v27
	v_lshlrev_b64 v[27:28], 3, v[7:8]
	v_mul_u32_u24_e32 v7, 0x510, v29
	v_lshlrev_b32_e32 v29, 3, v33
	s_delay_alu instid0(VALU_DEP_4) | instskip(NEXT) | instid1(VALU_DEP_4)
	v_and_b32_e32 v33, 0xffff, v30
	v_add_co_u32 v31, s0, s8, v27
	s_delay_alu instid0(VALU_DEP_1) | instskip(NEXT) | instid1(VALU_DEP_4)
	v_add_co_ci_u32_e64 v32, s0, s9, v28, s0
	v_add3_u32 v7, 0, v7, v29
	ds_load_2addr_b64 v[27:30], v0 offset1:243
	v_lshlrev_b32_e32 v38, 4, v33
	s_waitcnt vmcnt(0) lgkmcnt(0)
	s_barrier
	buffer_gl0_inv
	v_cmp_lt_u32_e64 s0, 0xa1, v5
	v_mul_f32_e32 v37, v12, v20
	v_dual_mul_f32 v12, v12, v19 :: v_dual_mul_f32 v39, v14, v24
	v_mul_f32_e32 v14, v14, v23
	v_mul_f32_e32 v40, v16, v22
	v_dual_mul_f32 v16, v16, v21 :: v_dual_mul_f32 v41, v18, v26
	v_mul_f32_e32 v18, v18, v25
	v_fma_f32 v19, v11, v19, -v37
	v_fmac_f32_e32 v12, v11, v20
	v_fma_f32 v11, v13, v23, -v39
	v_fmac_f32_e32 v14, v13, v24
	;; [unrolled: 2-line block ×4, first 2 shown]
	v_add_f32_e32 v20, v19, v11
	v_add_f32_e32 v22, v12, v28
	;; [unrolled: 1-line block ×6, first 2 shown]
	v_sub_f32_e32 v21, v12, v14
	v_dual_sub_f32 v19, v19, v11 :: v_dual_add_f32 v24, v29, v13
	v_dual_add_f32 v37, v30, v16 :: v_dual_sub_f32 v40, v13, v15
	v_fma_f32 v13, -0.5, v20, v27
	v_add_f32_e32 v12, v22, v14
	v_fma_f32 v14, -0.5, v23, v28
	v_sub_f32_e32 v26, v16, v18
	v_fma_f32 v29, -0.5, v25, v29
	v_fmac_f32_e32 v30, -0.5, v39
	v_add_f32_e32 v11, v17, v11
	v_add_f32_e32 v16, v37, v18
	v_fmamk_f32 v17, v21, 0x3f5db3d7, v13
	v_dual_fmamk_f32 v18, v19, 0xbf5db3d7, v14 :: v_dual_fmac_f32 v13, 0xbf5db3d7, v21
	v_fmac_f32_e32 v14, 0x3f5db3d7, v19
	v_add_f32_e32 v15, v24, v15
	v_fmamk_f32 v19, v26, 0x3f5db3d7, v29
	v_dual_fmamk_f32 v20, v40, 0xbf5db3d7, v30 :: v_dual_fmac_f32 v29, 0xbf5db3d7, v26
	v_fmac_f32_e32 v30, 0x3f5db3d7, v40
	ds_store_2addr_b64 v7, v[11:12], v[17:18] offset1:54
	ds_store_b64 v7, v[13:14] offset:864
	ds_store_2addr_b64 v34, v[15:16], v[19:20] offset1:54
	ds_store_b64 v34, v[29:30] offset:864
	s_waitcnt lgkmcnt(0)
	s_barrier
	buffer_gl0_inv
	s_clause 0x1
	global_load_b128 v[11:14], v[31:32], off offset:1248
	global_load_b128 v[15:18], v38, s[8:9] offset:1248
	v_lshlrev_b32_e32 v7, 1, v5
	v_cndmask_b32_e64 v29, 0, 0xf30, s0
	v_lshlrev_b32_e32 v30, 3, v35
	ds_load_2addr_b64 v[19:22], v6 offset0:6 offset1:249
	ds_load_2addr_b64 v[23:26], v9 offset0:12 offset1:255
	v_lshlrev_b64 v[27:28], 3, v[7:8]
	v_lshlrev_b32_e32 v7, 1, v10
	v_add3_u32 v35, 0, v29, v30
	v_mul_u32_u24_e32 v10, 0xf30, v36
	s_delay_alu instid0(VALU_DEP_3) | instskip(SKIP_1) | instid1(VALU_DEP_1)
	v_lshlrev_b64 v[29:30], 3, v[7:8]
	v_add_co_u32 v31, s0, s8, v27
	v_add_co_ci_u32_e64 v32, s0, s9, v28, s0
	v_lshlrev_b32_e32 v7, 3, v33
	s_delay_alu instid0(VALU_DEP_4) | instskip(NEXT) | instid1(VALU_DEP_1)
	v_add_co_u32 v33, s0, s8, v29
	v_add_co_ci_u32_e64 v34, s0, s9, v30, s0
	ds_load_2addr_b64 v[27:30], v0 offset1:243
	v_add3_u32 v7, 0, v10, v7
	s_waitcnt vmcnt(0) lgkmcnt(0)
	s_barrier
	buffer_gl0_inv
	v_mul_f32_e32 v10, v12, v20
	v_mul_f32_e32 v12, v12, v19
	;; [unrolled: 1-line block ×3, first 2 shown]
	v_dual_mul_f32 v14, v14, v23 :: v_dual_mul_f32 v37, v16, v22
	v_mul_f32_e32 v16, v16, v21
	v_mul_f32_e32 v38, v18, v26
	;; [unrolled: 1-line block ×3, first 2 shown]
	v_fma_f32 v10, v11, v19, -v10
	v_fmac_f32_e32 v12, v11, v20
	v_fma_f32 v11, v13, v23, -v36
	v_fmac_f32_e32 v14, v13, v24
	;; [unrolled: 2-line block ×3, first 2 shown]
	v_fma_f32 v15, v17, v25, -v38
	v_dual_fmac_f32 v18, v17, v26 :: v_dual_add_f32 v19, v10, v11
	v_add_f32_e32 v22, v12, v14
	s_delay_alu instid0(VALU_DEP_3) | instskip(NEXT) | instid1(VALU_DEP_3)
	v_dual_add_f32 v36, v30, v16 :: v_dual_add_f32 v25, v13, v15
	v_sub_f32_e32 v26, v16, v18
	v_dual_add_f32 v16, v16, v18 :: v_dual_add_f32 v17, v10, v27
	v_sub_f32_e32 v20, v12, v14
	v_add_f32_e32 v21, v12, v28
	v_dual_sub_f32 v23, v10, v11 :: v_dual_add_f32 v24, v29, v13
	v_sub_f32_e32 v37, v13, v15
	v_fma_f32 v12, -0.5, v19, v27
	v_fma_f32 v13, -0.5, v22, v28
	;; [unrolled: 1-line block ×3, first 2 shown]
	v_fmac_f32_e32 v30, -0.5, v16
	v_add_f32_e32 v10, v17, v11
	v_dual_add_f32 v11, v21, v14 :: v_dual_fmamk_f32 v16, v20, 0x3f5db3d7, v12
	v_dual_fmamk_f32 v17, v23, 0xbf5db3d7, v13 :: v_dual_fmac_f32 v12, 0xbf5db3d7, v20
	v_fmac_f32_e32 v13, 0x3f5db3d7, v23
	v_add_f32_e32 v14, v24, v15
	v_dual_add_f32 v15, v36, v18 :: v_dual_fmamk_f32 v18, v26, 0x3f5db3d7, v29
	v_fmamk_f32 v19, v37, 0xbf5db3d7, v30
	v_fmac_f32_e32 v29, 0xbf5db3d7, v26
	v_fmac_f32_e32 v30, 0x3f5db3d7, v37
	ds_store_2addr_b64 v35, v[10:11], v[16:17] offset1:162
	ds_store_b64 v35, v[12:13] offset:2592
	ds_store_2addr_b64 v7, v[14:15], v[18:19] offset1:162
	ds_store_b64 v7, v[29:30] offset:2592
	s_waitcnt lgkmcnt(0)
	s_barrier
	buffer_gl0_inv
	s_clause 0x1
	global_load_b128 v[10:13], v[31:32], off offset:3840
	global_load_b128 v[14:17], v[33:34], off offset:3840
	ds_load_2addr_b64 v[18:21], v6 offset0:6 offset1:249
	ds_load_2addr_b64 v[22:25], v9 offset0:12 offset1:255
	ds_load_2addr_b64 v[26:29], v0 offset1:243
	s_waitcnt vmcnt(0) lgkmcnt(0)
	s_barrier
	buffer_gl0_inv
	v_mul_f32_e32 v7, v11, v19
	v_dual_mul_f32 v11, v11, v18 :: v_dual_mul_f32 v30, v13, v23
	v_mul_f32_e32 v13, v13, v22
	v_mul_f32_e32 v31, v15, v21
	v_dual_mul_f32 v15, v15, v20 :: v_dual_mul_f32 v32, v17, v25
	v_mul_f32_e32 v17, v17, v24
	v_fma_f32 v7, v10, v18, -v7
	v_fmac_f32_e32 v11, v10, v19
	v_fma_f32 v10, v12, v22, -v30
	v_fmac_f32_e32 v13, v12, v23
	;; [unrolled: 2-line block ×3, first 2 shown]
	v_fma_f32 v14, v16, v24, -v32
	v_dual_fmac_f32 v17, v16, v25 :: v_dual_add_f32 v18, v7, v10
	v_add_f32_e32 v20, v11, v27
	v_add_f32_e32 v21, v11, v13
	s_delay_alu instid0(VALU_DEP_3)
	v_dual_add_f32 v23, v12, v14 :: v_dual_add_f32 v30, v15, v17
	v_add_f32_e32 v16, v7, v26
	v_dual_add_f32 v22, v28, v12 :: v_dual_add_f32 v25, v29, v15
	v_sub_f32_e32 v19, v11, v13
	v_sub_f32_e32 v7, v7, v10
	v_dual_sub_f32 v24, v15, v17 :: v_dual_sub_f32 v31, v12, v14
	v_fma_f32 v12, -0.5, v18, v26
	v_add_f32_e32 v11, v20, v13
	v_fma_f32 v13, -0.5, v21, v27
	v_fma_f32 v28, -0.5, v23, v28
	v_fmac_f32_e32 v29, -0.5, v30
	v_add_f32_e32 v10, v16, v10
	v_dual_add_f32 v14, v22, v14 :: v_dual_add_f32 v15, v25, v17
	v_fmamk_f32 v16, v19, 0x3f5db3d7, v12
	v_dual_fmac_f32 v12, 0xbf5db3d7, v19 :: v_dual_fmamk_f32 v17, v7, 0xbf5db3d7, v13
	v_fmamk_f32 v18, v24, 0x3f5db3d7, v28
	v_fmamk_f32 v19, v31, 0xbf5db3d7, v29
	v_fmac_f32_e32 v29, 0x3f5db3d7, v31
	v_fmac_f32_e32 v13, 0x3f5db3d7, v7
	v_fmac_f32_e32 v28, 0xbf5db3d7, v24
	ds_store_2addr_b64 v0, v[10:11], v[14:15] offset1:243
	ds_store_2addr_b64 v6, v[16:17], v[18:19] offset0:6 offset1:249
	ds_store_2addr_b64 v9, v[12:13], v[28:29] offset0:12 offset1:255
	s_waitcnt lgkmcnt(0)
	s_barrier
	buffer_gl0_inv
	s_and_saveexec_b32 s0, vcc_lo
	s_cbranch_execz .LBB0_21
; %bb.20:
	v_mul_lo_u32 v0, s3, v3
	v_mul_lo_u32 v4, s2, v4
	v_mad_u64_u32 v[9:10], null, s2, v3, 0
	v_dual_mov_b32 v6, v8 :: v_dual_add_nc_u32 v7, 0xf3, v5
	v_lshlrev_b64 v[11:12], 3, v[1:2]
	v_lshl_add_u32 v25, v5, 3, 0
	s_delay_alu instid0(VALU_DEP_3)
	v_lshlrev_b64 v[13:14], 3, v[5:6]
	v_add3_u32 v10, v10, v4, v0
	v_lshlrev_b64 v[15:16], 3, v[7:8]
	v_add_nc_u32_e32 v7, 0x1e6, v5
	v_add_nc_u32_e32 v4, 0xf00, v25
	ds_load_2addr_b64 v[0:3], v25 offset1:243
	v_lshlrev_b64 v[9:10], 3, v[9:10]
	v_lshlrev_b64 v[17:18], 3, v[7:8]
	v_add_nc_u32_e32 v7, 0x2d9, v5
	s_delay_alu instid0(VALU_DEP_3) | instskip(NEXT) | instid1(VALU_DEP_4)
	v_add_co_u32 v6, vcc_lo, s6, v9
	v_add_co_ci_u32_e32 v9, vcc_lo, s7, v10, vcc_lo
	s_delay_alu instid0(VALU_DEP_3) | instskip(NEXT) | instid1(VALU_DEP_3)
	v_lshlrev_b64 v[23:24], 3, v[7:8]
	v_add_co_u32 v27, vcc_lo, v6, v11
	s_delay_alu instid0(VALU_DEP_3)
	v_add_co_ci_u32_e32 v28, vcc_lo, v9, v12, vcc_lo
	ds_load_2addr_b64 v[9:12], v4 offset0:6 offset1:249
	v_add_co_u32 v19, vcc_lo, v27, v13
	v_add_nc_u32_e32 v4, 0x1e00, v25
	v_add_co_ci_u32_e32 v20, vcc_lo, v28, v14, vcc_lo
	v_add_co_u32 v21, vcc_lo, v27, v15
	v_add_nc_u32_e32 v7, 0x3cc, v5
	v_add_co_ci_u32_e32 v22, vcc_lo, v28, v16, vcc_lo
	ds_load_2addr_b64 v[13:16], v4 offset0:12 offset1:255
	v_add_co_u32 v17, vcc_lo, v27, v17
	v_lshlrev_b64 v[25:26], 3, v[7:8]
	v_add_nc_u32_e32 v7, 0x4bf, v5
	v_add_co_ci_u32_e32 v18, vcc_lo, v28, v18, vcc_lo
	v_add_co_u32 v4, vcc_lo, v27, v23
	s_delay_alu instid0(VALU_DEP_3) | instskip(SKIP_3) | instid1(VALU_DEP_4)
	v_lshlrev_b64 v[6:7], 3, v[7:8]
	v_add_co_ci_u32_e32 v5, vcc_lo, v28, v24, vcc_lo
	v_add_co_u32 v23, vcc_lo, v27, v25
	v_add_co_ci_u32_e32 v24, vcc_lo, v28, v26, vcc_lo
	v_add_co_u32 v6, vcc_lo, v27, v6
	v_add_co_ci_u32_e32 v7, vcc_lo, v28, v7, vcc_lo
	s_waitcnt lgkmcnt(2)
	s_clause 0x1
	global_store_b64 v[19:20], v[0:1], off
	global_store_b64 v[21:22], v[2:3], off
	s_waitcnt lgkmcnt(1)
	s_clause 0x1
	global_store_b64 v[17:18], v[9:10], off
	global_store_b64 v[4:5], v[11:12], off
	;; [unrolled: 4-line block ×3, first 2 shown]
.LBB0_21:
	s_nop 0
	s_sendmsg sendmsg(MSG_DEALLOC_VGPRS)
	s_endpgm
	.section	.rodata,"a",@progbits
	.p2align	6, 0x0
	.amdhsa_kernel fft_rtc_fwd_len1458_factors_6_3_3_3_3_3_wgs_243_tpt_243_halfLds_sp_op_CI_CI_unitstride_sbrr_C2R_dirReg
		.amdhsa_group_segment_fixed_size 0
		.amdhsa_private_segment_fixed_size 0
		.amdhsa_kernarg_size 104
		.amdhsa_user_sgpr_count 15
		.amdhsa_user_sgpr_dispatch_ptr 0
		.amdhsa_user_sgpr_queue_ptr 0
		.amdhsa_user_sgpr_kernarg_segment_ptr 1
		.amdhsa_user_sgpr_dispatch_id 0
		.amdhsa_user_sgpr_private_segment_size 0
		.amdhsa_wavefront_size32 1
		.amdhsa_uses_dynamic_stack 0
		.amdhsa_enable_private_segment 0
		.amdhsa_system_sgpr_workgroup_id_x 1
		.amdhsa_system_sgpr_workgroup_id_y 0
		.amdhsa_system_sgpr_workgroup_id_z 0
		.amdhsa_system_sgpr_workgroup_info 0
		.amdhsa_system_vgpr_workitem_id 0
		.amdhsa_next_free_vgpr 43
		.amdhsa_next_free_sgpr 27
		.amdhsa_reserve_vcc 1
		.amdhsa_float_round_mode_32 0
		.amdhsa_float_round_mode_16_64 0
		.amdhsa_float_denorm_mode_32 3
		.amdhsa_float_denorm_mode_16_64 3
		.amdhsa_dx10_clamp 1
		.amdhsa_ieee_mode 1
		.amdhsa_fp16_overflow 0
		.amdhsa_workgroup_processor_mode 1
		.amdhsa_memory_ordered 1
		.amdhsa_forward_progress 0
		.amdhsa_shared_vgpr_count 0
		.amdhsa_exception_fp_ieee_invalid_op 0
		.amdhsa_exception_fp_denorm_src 0
		.amdhsa_exception_fp_ieee_div_zero 0
		.amdhsa_exception_fp_ieee_overflow 0
		.amdhsa_exception_fp_ieee_underflow 0
		.amdhsa_exception_fp_ieee_inexact 0
		.amdhsa_exception_int_div_zero 0
	.end_amdhsa_kernel
	.text
.Lfunc_end0:
	.size	fft_rtc_fwd_len1458_factors_6_3_3_3_3_3_wgs_243_tpt_243_halfLds_sp_op_CI_CI_unitstride_sbrr_C2R_dirReg, .Lfunc_end0-fft_rtc_fwd_len1458_factors_6_3_3_3_3_3_wgs_243_tpt_243_halfLds_sp_op_CI_CI_unitstride_sbrr_C2R_dirReg
                                        ; -- End function
	.section	.AMDGPU.csdata,"",@progbits
; Kernel info:
; codeLenInByte = 5652
; NumSgprs: 29
; NumVgprs: 43
; ScratchSize: 0
; MemoryBound: 0
; FloatMode: 240
; IeeeMode: 1
; LDSByteSize: 0 bytes/workgroup (compile time only)
; SGPRBlocks: 3
; VGPRBlocks: 5
; NumSGPRsForWavesPerEU: 29
; NumVGPRsForWavesPerEU: 43
; Occupancy: 16
; WaveLimiterHint : 1
; COMPUTE_PGM_RSRC2:SCRATCH_EN: 0
; COMPUTE_PGM_RSRC2:USER_SGPR: 15
; COMPUTE_PGM_RSRC2:TRAP_HANDLER: 0
; COMPUTE_PGM_RSRC2:TGID_X_EN: 1
; COMPUTE_PGM_RSRC2:TGID_Y_EN: 0
; COMPUTE_PGM_RSRC2:TGID_Z_EN: 0
; COMPUTE_PGM_RSRC2:TIDIG_COMP_CNT: 0
	.text
	.p2alignl 7, 3214868480
	.fill 96, 4, 3214868480
	.type	__hip_cuid_5f157ea083eb6a42,@object ; @__hip_cuid_5f157ea083eb6a42
	.section	.bss,"aw",@nobits
	.globl	__hip_cuid_5f157ea083eb6a42
__hip_cuid_5f157ea083eb6a42:
	.byte	0                               ; 0x0
	.size	__hip_cuid_5f157ea083eb6a42, 1

	.ident	"AMD clang version 19.0.0git (https://github.com/RadeonOpenCompute/llvm-project roc-6.4.0 25133 c7fe45cf4b819c5991fe208aaa96edf142730f1d)"
	.section	".note.GNU-stack","",@progbits
	.addrsig
	.addrsig_sym __hip_cuid_5f157ea083eb6a42
	.amdgpu_metadata
---
amdhsa.kernels:
  - .args:
      - .actual_access:  read_only
        .address_space:  global
        .offset:         0
        .size:           8
        .value_kind:     global_buffer
      - .offset:         8
        .size:           8
        .value_kind:     by_value
      - .actual_access:  read_only
        .address_space:  global
        .offset:         16
        .size:           8
        .value_kind:     global_buffer
      - .actual_access:  read_only
        .address_space:  global
        .offset:         24
        .size:           8
        .value_kind:     global_buffer
      - .actual_access:  read_only
        .address_space:  global
        .offset:         32
        .size:           8
        .value_kind:     global_buffer
      - .offset:         40
        .size:           8
        .value_kind:     by_value
      - .actual_access:  read_only
        .address_space:  global
        .offset:         48
        .size:           8
        .value_kind:     global_buffer
      - .actual_access:  read_only
        .address_space:  global
        .offset:         56
        .size:           8
        .value_kind:     global_buffer
      - .offset:         64
        .size:           4
        .value_kind:     by_value
      - .actual_access:  read_only
        .address_space:  global
        .offset:         72
        .size:           8
        .value_kind:     global_buffer
      - .actual_access:  read_only
        .address_space:  global
        .offset:         80
        .size:           8
        .value_kind:     global_buffer
      - .actual_access:  read_only
        .address_space:  global
        .offset:         88
        .size:           8
        .value_kind:     global_buffer
      - .actual_access:  write_only
        .address_space:  global
        .offset:         96
        .size:           8
        .value_kind:     global_buffer
    .group_segment_fixed_size: 0
    .kernarg_segment_align: 8
    .kernarg_segment_size: 104
    .language:       OpenCL C
    .language_version:
      - 2
      - 0
    .max_flat_workgroup_size: 243
    .name:           fft_rtc_fwd_len1458_factors_6_3_3_3_3_3_wgs_243_tpt_243_halfLds_sp_op_CI_CI_unitstride_sbrr_C2R_dirReg
    .private_segment_fixed_size: 0
    .sgpr_count:     29
    .sgpr_spill_count: 0
    .symbol:         fft_rtc_fwd_len1458_factors_6_3_3_3_3_3_wgs_243_tpt_243_halfLds_sp_op_CI_CI_unitstride_sbrr_C2R_dirReg.kd
    .uniform_work_group_size: 1
    .uses_dynamic_stack: false
    .vgpr_count:     43
    .vgpr_spill_count: 0
    .wavefront_size: 32
    .workgroup_processor_mode: 1
amdhsa.target:   amdgcn-amd-amdhsa--gfx1100
amdhsa.version:
  - 1
  - 2
...

	.end_amdgpu_metadata
